;; amdgpu-corpus repo=ROCm/rocFFT kind=compiled arch=gfx1030 opt=O3
	.text
	.amdgcn_target "amdgcn-amd-amdhsa--gfx1030"
	.amdhsa_code_object_version 6
	.protected	bluestein_single_fwd_len175_dim1_half_op_CI_CI ; -- Begin function bluestein_single_fwd_len175_dim1_half_op_CI_CI
	.globl	bluestein_single_fwd_len175_dim1_half_op_CI_CI
	.p2align	8
	.type	bluestein_single_fwd_len175_dim1_half_op_CI_CI,@function
bluestein_single_fwd_len175_dim1_half_op_CI_CI: ; @bluestein_single_fwd_len175_dim1_half_op_CI_CI
; %bb.0:
	s_load_dwordx4 s[8:11], s[4:5], 0x28
	v_mul_u32_u24_e32 v1, 0x751, v0
	s_mov_b32 s0, exec_lo
	v_lshrrev_b32_e32 v1, 16, v1
	v_mad_u64_u32 v[8:9], null, s6, 7, v[1:2]
	v_mov_b32_e32 v9, 0
	s_waitcnt lgkmcnt(0)
	v_cmpx_gt_u64_e64 s[8:9], v[8:9]
	s_cbranch_execz .LBB0_10
; %bb.1:
	s_clause 0x1
	s_load_dwordx4 s[0:3], s[4:5], 0x18
	s_load_dwordx4 s[12:15], s[4:5], 0x0
	v_mul_lo_u16 v1, v1, 35
	v_sub_nc_u16 v7, v0, v1
	v_and_b32_e32 v24, 0xffff, v7
	v_lshlrev_b32_e32 v29, 2, v24
	s_waitcnt lgkmcnt(0)
	s_load_dwordx4 s[16:19], s[0:1], 0x0
	s_clause 0x1
	global_load_dword v25, v29, s[12:13]
	global_load_dword v27, v29, s[12:13] offset:140
	s_waitcnt lgkmcnt(0)
	v_mad_u64_u32 v[0:1], null, s18, v8, 0
	v_mad_u64_u32 v[2:3], null, s16, v24, 0
	s_mul_i32 s0, s17, 0x8c
	s_mul_hi_u32 s1, s16, 0x8c
	s_mul_i32 s6, s16, 0x8c
	s_add_i32 s1, s1, s0
	v_mad_u64_u32 v[4:5], null, s19, v8, v[1:2]
	v_mad_u64_u32 v[5:6], null, s17, v24, v[3:4]
	v_mov_b32_e32 v1, v4
	v_lshlrev_b64 v[0:1], 2, v[0:1]
	v_mov_b32_e32 v3, v5
	v_add_co_u32 v0, vcc_lo, s10, v0
	v_lshlrev_b64 v[2:3], 2, v[2:3]
	v_add_co_ci_u32_e32 v1, vcc_lo, s11, v1, vcc_lo
	v_add_co_u32 v0, vcc_lo, v0, v2
	v_add_co_ci_u32_e32 v1, vcc_lo, v1, v3, vcc_lo
	v_add_co_u32 v2, vcc_lo, v0, s6
	v_add_co_ci_u32_e32 v3, vcc_lo, s1, v1, vcc_lo
	s_clause 0x1
	global_load_dword v4, v[0:1], off
	global_load_dword v5, v[2:3], off
	v_add_co_u32 v0, vcc_lo, v2, s6
	v_add_co_ci_u32_e32 v1, vcc_lo, s1, v3, vcc_lo
	v_add_co_u32 v2, vcc_lo, v0, s6
	v_add_co_ci_u32_e32 v3, vcc_lo, s1, v1, vcc_lo
	global_load_dword v6, v[0:1], off
	v_add_co_u32 v0, vcc_lo, v2, s6
	v_add_co_ci_u32_e32 v1, vcc_lo, s1, v3, vcc_lo
	global_load_dword v26, v29, s[12:13] offset:280
	s_clause 0x1
	global_load_dword v2, v[2:3], off
	global_load_dword v0, v[0:1], off
	s_clause 0x1
	global_load_dword v22, v29, s[12:13] offset:420
	global_load_dword v21, v29, s[12:13] offset:560
	v_mul_hi_u32 v1, 0x24924925, v8
	s_load_dwordx4 s[8:11], s[2:3], 0x0
	v_cmp_gt_u16_e32 vcc_lo, 25, v7
	s_load_dwordx2 s[2:3], s[4:5], 0x38
	v_sub_nc_u32_e32 v3, v8, v1
	v_lshrrev_b32_e32 v3, 1, v3
	v_add_nc_u32_e32 v1, v3, v1
	v_and_b32_e32 v3, 0xff, v7
	v_lshrrev_b32_e32 v1, 2, v1
	v_mul_lo_u32 v1, v1, 7
	v_sub_nc_u32_e32 v1, v8, v1
	v_mul_u32_u24_e32 v1, 0xaf, v1
	v_lshlrev_b32_e32 v28, 2, v1
	v_mul_lo_u16 v1, 0xcd, v3
	v_add_nc_u32_e32 v23, v29, v28
	s_waitcnt vmcnt(7)
	v_lshrrev_b32_e32 v9, 16, v4
	v_mul_f16_sdwa v3, v25, v4 dst_sel:DWORD dst_unused:UNUSED_PAD src0_sel:WORD_1 src1_sel:DWORD
	s_waitcnt vmcnt(6)
	v_lshrrev_b32_e32 v10, 16, v5
	v_mul_f16_sdwa v12, v27, v5 dst_sel:DWORD dst_unused:UNUSED_PAD src0_sel:WORD_1 src1_sel:DWORD
	v_mul_f16_sdwa v11, v25, v9 dst_sel:DWORD dst_unused:UNUSED_PAD src0_sel:WORD_1 src1_sel:DWORD
	v_fma_f16 v3, v25, v9, -v3
	v_mul_f16_sdwa v9, v27, v10 dst_sel:DWORD dst_unused:UNUSED_PAD src0_sel:WORD_1 src1_sel:DWORD
	v_fma_f16 v10, v27, v10, -v12
	v_fmac_f16_e32 v11, v25, v4
	s_waitcnt vmcnt(5)
	v_lshrrev_b32_e32 v4, 16, v6
	v_fmac_f16_e32 v9, v27, v5
	s_waitcnt vmcnt(4)
	v_mul_f16_sdwa v12, v26, v6 dst_sel:DWORD dst_unused:UNUSED_PAD src0_sel:WORD_1 src1_sel:DWORD
	s_waitcnt vmcnt(3)
	v_lshrrev_b32_e32 v5, 16, v2
	s_waitcnt vmcnt(2)
	v_lshrrev_b32_e32 v14, 16, v0
	v_mul_f16_sdwa v13, v26, v4 dst_sel:DWORD dst_unused:UNUSED_PAD src0_sel:WORD_1 src1_sel:DWORD
	s_waitcnt vmcnt(0)
	v_mul_f16_sdwa v16, v21, v0 dst_sel:DWORD dst_unused:UNUSED_PAD src0_sel:WORD_1 src1_sel:DWORD
	v_fma_f16 v4, v26, v4, -v12
	v_mul_f16_sdwa v12, v22, v2 dst_sel:DWORD dst_unused:UNUSED_PAD src0_sel:WORD_1 src1_sel:DWORD
	v_mul_f16_sdwa v15, v22, v5 dst_sel:DWORD dst_unused:UNUSED_PAD src0_sel:WORD_1 src1_sel:DWORD
	;; [unrolled: 1-line block ×3, first 2 shown]
	v_fmac_f16_e32 v13, v26, v6
	v_lshrrev_b16 v6, 10, v1
	v_fma_f16 v5, v22, v5, -v12
	v_fmac_f16_e32 v15, v22, v2
	v_fma_f16 v2, v21, v14, -v16
	v_fmac_f16_e32 v17, v21, v0
	v_pack_b32_f16 v0, v11, v3
	v_pack_b32_f16 v3, v9, v10
	;; [unrolled: 1-line block ×5, first 2 shown]
	ds_write2_b32 v23, v0, v3 offset1:35
	ds_write2_b32 v23, v4, v5 offset0:70 offset1:105
	ds_write_b32 v23, v2 offset:560
	s_waitcnt lgkmcnt(0)
	s_barrier
	buffer_gl0_inv
	ds_read2_b32 v[0:1], v23 offset1:35
	ds_read2_b32 v[2:3], v23 offset0:70 offset1:105
	ds_read_b32 v4, v23 offset:560
	v_mul_lo_u16 v5, v6, 5
	v_mul_lo_u16 v9, v7, 5
	v_mov_b32_e32 v10, 4
	s_waitcnt lgkmcnt(0)
	s_barrier
	v_sub_nc_u16 v13, v7, v5
	v_and_b32_e32 v5, 0xffff, v9
	buffer_gl0_inv
	v_lshlrev_b32_sdwa v9, v10, v13 dst_sel:DWORD dst_unused:UNUSED_PAD src0_sel:DWORD src1_sel:BYTE_0
	v_lshl_add_u32 v31, v5, 2, v28
	v_pk_add_f16 v5, v0, v1
	v_pk_add_f16 v10, v2, v3
	v_pk_add_f16 v11, v1, v4 neg_lo:[0,1] neg_hi:[0,1]
	v_pk_add_f16 v12, v2, v3 neg_lo:[0,1] neg_hi:[0,1]
	v_pk_add_f16 v16, v1, v4
	v_pk_add_f16 v14, v1, v2 neg_lo:[0,1] neg_hi:[0,1]
	v_pk_fma_f16 v10, v10, 0.5, v0 op_sel_hi:[1,0,1] neg_lo:[1,0,0] neg_hi:[1,0,0]
	v_pk_mul_f16 v18, 0x3b9c, v11 op_sel_hi:[0,1]
	v_pk_mul_f16 v11, 0x38b4, v11 op_sel_hi:[0,1]
	v_pk_fma_f16 v0, v16, 0.5, v0 op_sel_hi:[1,0,1] neg_lo:[1,0,0] neg_hi:[1,0,0]
	v_pk_mul_f16 v16, 0x3b9c, v12 op_sel_hi:[0,1]
	v_pk_mul_f16 v12, 0x38b4, v12 op_sel_hi:[0,1]
	v_pk_add_f16 v19, v10, v18 op_sel:[0,1] op_sel_hi:[1,0]
	v_pk_add_f16 v10, v10, v18 op_sel:[0,1] op_sel_hi:[1,0] neg_lo:[0,1] neg_hi:[0,1]
	v_pk_add_f16 v15, v4, v3 neg_lo:[0,1] neg_hi:[0,1]
	v_pk_add_f16 v18, v0, v16 op_sel:[0,1] op_sel_hi:[1,0] neg_lo:[0,1] neg_hi:[0,1]
	v_pk_add_f16 v0, v0, v16 op_sel:[0,1] op_sel_hi:[1,0]
	v_pk_add_f16 v1, v2, v1 neg_lo:[0,1] neg_hi:[0,1]
	v_pk_add_f16 v2, v5, v2
	v_pk_add_f16 v5, v19, v12 op_sel:[0,1] op_sel_hi:[1,0]
	v_pk_add_f16 v10, v10, v12 op_sel:[0,1] op_sel_hi:[1,0] neg_lo:[0,1] neg_hi:[0,1]
	v_pk_add_f16 v17, v3, v4 neg_lo:[0,1] neg_hi:[0,1]
	v_pk_add_f16 v12, v18, v11 op_sel:[0,1] op_sel_hi:[1,0]
	v_pk_add_f16 v0, v0, v11 op_sel:[0,1] op_sel_hi:[1,0] neg_lo:[0,1] neg_hi:[0,1]
	v_pk_add_f16 v11, v14, v15
	v_pk_add_f16 v2, v2, v3
	v_bfi_b32 v3, 0xffff, v5, v10
	v_pk_add_f16 v1, v1, v17
	v_bfi_b32 v14, 0xffff, v12, v0
	v_bfi_b32 v0, 0xffff, v0, v12
	v_bfi_b32 v5, 0xffff, v10, v5
	v_pk_add_f16 v2, v2, v4
	v_pk_fma_f16 v3, 0x34f2, v11, v3 op_sel_hi:[0,1,1]
	v_pk_fma_f16 v4, 0x34f2, v1, v14 op_sel_hi:[0,1,1]
	;; [unrolled: 1-line block ×4, first 2 shown]
	ds_write2_b32 v31, v2, v3 offset1:1
	ds_write2_b32 v31, v4, v0 offset0:2 offset1:3
	ds_write_b32 v31, v1 offset:16
	s_waitcnt lgkmcnt(0)
	s_barrier
	buffer_gl0_inv
	global_load_dwordx4 v[0:3], v9, s[14:15]
	ds_read2_b32 v[11:12], v23 offset1:35
	ds_read2_b32 v[4:5], v23 offset0:70 offset1:105
	ds_read_b32 v10, v23 offset:560
	v_mov_b32_e32 v9, 25
	s_waitcnt vmcnt(0) lgkmcnt(0)
	s_barrier
	buffer_gl0_inv
	v_mul_u32_u24_sdwa v6, v6, v9 dst_sel:DWORD dst_unused:UNUSED_PAD src0_sel:WORD_0 src1_sel:DWORD
	v_add_nc_u32_sdwa v6, v6, v13 dst_sel:DWORD dst_unused:UNUSED_PAD src0_sel:DWORD src1_sel:BYTE_0
	v_add_co_u32 v13, s0, s12, v29
	v_add_co_ci_u32_e64 v14, null, s13, 0, s0
	v_lshl_add_u32 v30, v6, 2, v28
	v_lshrrev_b32_e32 v6, 16, v12
	v_lshrrev_b32_e32 v7, 16, v4
	;; [unrolled: 1-line block ×5, first 2 shown]
	v_mul_f16_sdwa v16, v6, v0 dst_sel:DWORD dst_unused:UNUSED_PAD src0_sel:DWORD src1_sel:WORD_1
	v_mul_f16_sdwa v17, v12, v0 dst_sel:DWORD dst_unused:UNUSED_PAD src0_sel:DWORD src1_sel:WORD_1
	;; [unrolled: 1-line block ×8, first 2 shown]
	v_fma_f16 v12, v12, v0, -v16
	v_fmac_f16_e32 v17, v6, v0
	v_fma_f16 v4, v4, v1, -v18
	v_fmac_f16_e32 v19, v7, v1
	v_fma_f16 v5, v5, v2, -v20
	v_fmac_f16_e32 v34, v9, v2
	v_fma_f16 v6, v10, v3, -v33
	v_fmac_f16_e32 v36, v15, v3
	v_add_f16_e32 v7, v11, v12
	v_add_f16_e32 v9, v4, v5
	v_sub_f16_e32 v15, v12, v4
	v_sub_f16_e32 v16, v6, v5
	;; [unrolled: 1-line block ×4, first 2 shown]
	v_add_f16_e32 v37, v32, v17
	v_add_f16_e32 v38, v19, v34
	;; [unrolled: 1-line block ×4, first 2 shown]
	v_sub_f16_e32 v10, v17, v36
	v_sub_f16_e32 v39, v12, v6
	;; [unrolled: 1-line block ×5, first 2 shown]
	v_add_f16_e32 v4, v7, v4
	v_fma_f16 v17, -0.5, v9, v11
	v_add_f16_e32 v7, v15, v16
	v_add_f16_e32 v9, v33, v35
	;; [unrolled: 1-line block ×3, first 2 shown]
	v_fma_f16 v33, -0.5, v38, v32
	v_sub_f16_e32 v18, v19, v34
	v_fmac_f16_e32 v11, -0.5, v20
	v_fmac_f16_e32 v32, -0.5, v42
	v_sub_f16_e32 v41, v36, v34
	v_sub_f16_e32 v44, v34, v36
	v_add_f16_e32 v4, v4, v5
	v_fmamk_f16 v16, v10, 0x3b9c, v17
	v_add_f16_e32 v5, v15, v34
	v_fmamk_f16 v34, v39, 0xbb9c, v33
	v_fmamk_f16 v19, v18, 0xbb9c, v11
	v_fmac_f16_e32 v11, 0x3b9c, v18
	v_fmamk_f16 v35, v40, 0x3b9c, v32
	v_fmac_f16_e32 v32, 0xbb9c, v40
	v_fmac_f16_e32 v17, 0xbb9c, v10
	;; [unrolled: 1-line block ×3, first 2 shown]
	v_add_f16_e32 v20, v12, v41
	v_fmac_f16_e32 v16, 0x38b4, v18
	v_fmac_f16_e32 v34, 0xb8b4, v40
	v_add_f16_e32 v37, v43, v44
	v_fmac_f16_e32 v19, 0x38b4, v10
	v_fmac_f16_e32 v11, 0xb8b4, v10
	;; [unrolled: 1-line block ×6, first 2 shown]
	v_add_f16_e32 v15, v4, v6
	v_add_f16_e32 v12, v5, v36
	v_fmac_f16_e32 v16, 0x34f2, v7
	v_fmac_f16_e32 v34, 0x34f2, v20
	;; [unrolled: 1-line block ×8, first 2 shown]
	v_pack_b32_f16 v4, v15, v12
	v_pack_b32_f16 v5, v16, v34
	;; [unrolled: 1-line block ×5, first 2 shown]
	ds_write2_b32 v30, v4, v5 offset1:5
	ds_write2_b32 v30, v6, v7 offset0:10 offset1:15
	ds_write_b32 v30, v9 offset:80
	s_waitcnt lgkmcnt(0)
	s_barrier
	buffer_gl0_inv
                                        ; implicit-def: $vgpr36
                                        ; implicit-def: $vgpr37
                                        ; implicit-def: $vgpr38
	s_and_saveexec_b32 s0, vcc_lo
	s_cbranch_execz .LBB0_3
; %bb.2:
	ds_read2_b32 v[15:16], v23 offset1:25
	ds_read2_b32 v[19:20], v23 offset0:50 offset1:75
	ds_read2_b32 v[17:18], v23 offset0:100 offset1:125
	ds_read_b32 v37, v23 offset:600
	s_waitcnt lgkmcnt(3)
	v_lshrrev_b32_e32 v12, 16, v15
	v_lshrrev_b32_e32 v34, 16, v16
	s_waitcnt lgkmcnt(2)
	v_lshrrev_b32_e32 v35, 16, v19
	v_lshrrev_b32_e32 v32, 16, v20
	;; [unrolled: 3-line block ×3, first 2 shown]
	s_waitcnt lgkmcnt(0)
	v_lshrrev_b32_e32 v38, 16, v37
	v_mov_b32_e32 v11, v20
.LBB0_3:
	s_or_b32 exec_lo, exec_lo, s0
	v_subrev_nc_u32_e32 v4, 25, v24
	v_cndmask_b32_e32 v4, v4, v24, vcc_lo
	v_mul_i32_i24_e32 v5, 24, v4
	v_mul_hi_i32_i24_e32 v4, 24, v4
	v_add_co_u32 v9, s0, s14, v5
	v_add_co_ci_u32_e64 v10, s0, s15, v4, s0
	s_clause 0x1
	global_load_dwordx4 v[4:7], v[9:10], off offset:80
	global_load_dwordx2 v[9:10], v[9:10], off offset:96
	s_waitcnt vmcnt(1)
	v_mul_f16_sdwa v20, v34, v4 dst_sel:DWORD dst_unused:UNUSED_PAD src0_sel:DWORD src1_sel:WORD_1
	v_mul_f16_sdwa v39, v16, v4 dst_sel:DWORD dst_unused:UNUSED_PAD src0_sel:DWORD src1_sel:WORD_1
	v_mul_f16_sdwa v40, v35, v5 dst_sel:DWORD dst_unused:UNUSED_PAD src0_sel:DWORD src1_sel:WORD_1
	v_mul_f16_sdwa v41, v19, v5 dst_sel:DWORD dst_unused:UNUSED_PAD src0_sel:DWORD src1_sel:WORD_1
	s_waitcnt vmcnt(0)
	v_mul_f16_sdwa v46, v36, v9 dst_sel:DWORD dst_unused:UNUSED_PAD src0_sel:DWORD src1_sel:WORD_1
	v_mul_f16_sdwa v47, v18, v9 dst_sel:DWORD dst_unused:UNUSED_PAD src0_sel:DWORD src1_sel:WORD_1
	;; [unrolled: 1-line block ×8, first 2 shown]
	v_fma_f16 v16, v16, v4, -v20
	v_fmac_f16_e32 v39, v34, v4
	v_fma_f16 v19, v19, v5, -v40
	v_fmac_f16_e32 v41, v35, v5
	v_fma_f16 v20, v37, v10, -v48
	v_fmac_f16_e32 v49, v38, v10
	v_fma_f16 v18, v18, v9, -v46
	v_fmac_f16_e32 v47, v36, v9
	v_fma_f16 v11, v11, v6, -v42
	v_fmac_f16_e32 v43, v32, v6
	v_fma_f16 v17, v17, v7, -v44
	v_fmac_f16_e32 v45, v33, v7
	v_add_f16_e32 v32, v16, v20
	v_add_f16_e32 v33, v39, v49
	;; [unrolled: 1-line block ×4, first 2 shown]
	v_sub_f16_e32 v16, v16, v20
	v_sub_f16_e32 v34, v39, v49
	;; [unrolled: 1-line block ×4, first 2 shown]
	v_add_f16_e32 v37, v11, v17
	v_add_f16_e32 v38, v43, v45
	v_sub_f16_e32 v17, v17, v11
	v_sub_f16_e32 v39, v45, v43
	v_add_f16_e32 v40, v35, v32
	v_add_f16_e32 v41, v36, v33
	v_sub_f16_e32 v11, v35, v32
	v_sub_f16_e32 v20, v36, v33
	v_sub_f16_e32 v42, v32, v37
	v_sub_f16_e32 v43, v33, v38
	v_sub_f16_e32 v32, v37, v35
	v_sub_f16_e32 v33, v38, v36
	v_add_f16_e32 v35, v17, v18
	v_add_f16_e32 v36, v39, v19
	v_sub_f16_e32 v44, v17, v18
	v_sub_f16_e32 v45, v39, v19
	;; [unrolled: 1-line block ×4, first 2 shown]
	v_add_f16_e32 v47, v37, v40
	v_add_f16_e32 v48, v38, v41
	v_sub_f16_e32 v17, v16, v17
	v_sub_f16_e32 v46, v34, v39
	v_add_f16_e32 v38, v35, v16
	v_add_f16_e32 v39, v36, v34
	v_mul_f16_e32 v16, 0x3a52, v42
	v_mul_f16_e32 v34, 0x3a52, v43
	;; [unrolled: 1-line block ×6, first 2 shown]
	v_add_f16_e32 v18, v15, v47
	v_add_f16_e32 v19, v12, v48
	v_fmamk_f16 v12, v32, 0x2b26, v16
	v_fmamk_f16 v15, v33, 0x2b26, v34
	v_fma_f16 v16, v11, 0xb9e0, -v16
	v_fma_f16 v49, v20, 0xb9e0, -v34
	v_fmamk_f16 v34, v17, 0x3574, v40
	v_fmamk_f16 v35, v46, 0x3574, v37
	v_fma_f16 v42, v17, 0xb574, -v43
	v_fma_f16 v36, v46, 0xb574, -v41
	v_fmamk_f16 v44, v47, 0xbcab, v18
	v_fmamk_f16 v45, v48, 0xbcab, v19
	v_fmac_f16_e32 v34, 0x370e, v38
	v_fmac_f16_e32 v35, 0x370e, v39
	;; [unrolled: 1-line block ×4, first 2 shown]
	v_add_f16_e32 v46, v16, v44
	v_add_f16_e32 v49, v49, v45
	;; [unrolled: 1-line block ×4, first 2 shown]
	v_sub_f16_e32 v12, v46, v36
	v_add_f16_e32 v15, v42, v49
	v_sub_f16_e32 v16, v47, v35
	v_add_f16_e32 v17, v34, v48
	s_and_saveexec_b32 s0, vcc_lo
	s_cbranch_execz .LBB0_5
; %bb.4:
	v_mul_f16_e32 v33, 0x2b26, v33
	v_mul_f16_e32 v20, 0x39e0, v20
	;; [unrolled: 1-line block ×6, first 2 shown]
	v_sub_f16_e32 v20, v20, v33
	v_sub_f16_e32 v33, v43, v40
	;; [unrolled: 1-line block ×5, first 2 shown]
	v_add_f16_e32 v20, v20, v45
	v_add_f16_e32 v32, v38, v33
	v_add_f16_e32 v33, v39, v37
	v_add_f16_e32 v11, v11, v44
	v_add_f16_e32 v35, v35, v47
	v_add_f16_e32 v36, v36, v46
	v_sub_f16_e32 v37, v20, v32
	v_add_f16_e32 v20, v32, v20
	v_sub_f16_e32 v32, v49, v42
	v_add_f16_e32 v38, v33, v11
	v_sub_f16_e32 v11, v11, v33
	v_perm_b32 v18, v19, v18, 0x5040100
	v_lshl_add_u32 v19, v24, 2, v28
	v_pack_b32_f16 v33, v35, v34
	v_pack_b32_f16 v32, v36, v32
	;; [unrolled: 1-line block ×4, first 2 shown]
	v_perm_b32 v34, v15, v12, 0x5040100
	v_perm_b32 v35, v17, v16, 0x5040100
	ds_write_b32 v23, v18
	ds_write2_b32 v19, v33, v32 offset0:25 offset1:50
	ds_write2_b32 v19, v11, v20 offset0:75 offset1:100
	;; [unrolled: 1-line block ×3, first 2 shown]
.LBB0_5:
	s_or_b32 exec_lo, exec_lo, s0
	s_add_u32 s0, s12, 0x2bc
	s_addc_u32 s1, s13, 0
	s_waitcnt lgkmcnt(0)
	s_barrier
	buffer_gl0_inv
	s_clause 0x4
	global_load_dword v11, v[13:14], off offset:700
	global_load_dword v20, v29, s[0:1] offset:140
	global_load_dword v32, v29, s[0:1] offset:280
	;; [unrolled: 1-line block ×4, first 2 shown]
	ds_read2_b32 v[13:14], v23 offset1:35
	ds_read2_b32 v[18:19], v23 offset0:70 offset1:105
	ds_read_b32 v34, v23 offset:560
	s_waitcnt lgkmcnt(2)
	v_lshrrev_b32_e32 v35, 16, v13
	v_lshrrev_b32_e32 v36, 16, v14
	s_waitcnt lgkmcnt(1)
	v_lshrrev_b32_e32 v37, 16, v18
	v_lshrrev_b32_e32 v38, 16, v19
	s_waitcnt lgkmcnt(0)
	v_lshrrev_b32_e32 v39, 16, v34
	s_waitcnt vmcnt(4)
	v_mul_f16_sdwa v40, v35, v11 dst_sel:DWORD dst_unused:UNUSED_PAD src0_sel:DWORD src1_sel:WORD_1
	v_mul_f16_sdwa v41, v13, v11 dst_sel:DWORD dst_unused:UNUSED_PAD src0_sel:DWORD src1_sel:WORD_1
	s_waitcnt vmcnt(3)
	v_mul_f16_sdwa v42, v36, v20 dst_sel:DWORD dst_unused:UNUSED_PAD src0_sel:DWORD src1_sel:WORD_1
	v_mul_f16_sdwa v43, v14, v20 dst_sel:DWORD dst_unused:UNUSED_PAD src0_sel:DWORD src1_sel:WORD_1
	s_waitcnt vmcnt(2)
	v_mul_f16_sdwa v44, v37, v32 dst_sel:DWORD dst_unused:UNUSED_PAD src0_sel:DWORD src1_sel:WORD_1
	v_mul_f16_sdwa v45, v18, v32 dst_sel:DWORD dst_unused:UNUSED_PAD src0_sel:DWORD src1_sel:WORD_1
	s_waitcnt vmcnt(1)
	v_mul_f16_sdwa v46, v38, v33 dst_sel:DWORD dst_unused:UNUSED_PAD src0_sel:DWORD src1_sel:WORD_1
	v_mul_f16_sdwa v47, v19, v33 dst_sel:DWORD dst_unused:UNUSED_PAD src0_sel:DWORD src1_sel:WORD_1
	s_waitcnt vmcnt(0)
	v_mul_f16_sdwa v48, v39, v29 dst_sel:DWORD dst_unused:UNUSED_PAD src0_sel:DWORD src1_sel:WORD_1
	v_mul_f16_sdwa v49, v34, v29 dst_sel:DWORD dst_unused:UNUSED_PAD src0_sel:DWORD src1_sel:WORD_1
	v_fma_f16 v13, v13, v11, -v40
	v_fmac_f16_e32 v41, v35, v11
	v_fma_f16 v11, v14, v20, -v42
	v_fmac_f16_e32 v43, v36, v20
	;; [unrolled: 2-line block ×5, first 2 shown]
	v_pack_b32_f16 v13, v13, v41
	v_pack_b32_f16 v11, v11, v43
	v_pack_b32_f16 v14, v14, v45
	v_pack_b32_f16 v18, v18, v47
	v_pack_b32_f16 v19, v19, v49
	ds_write2_b32 v23, v13, v11 offset1:35
	ds_write2_b32 v23, v14, v18 offset0:70 offset1:105
	ds_write_b32 v23, v19 offset:560
	s_waitcnt lgkmcnt(0)
	s_barrier
	buffer_gl0_inv
	ds_read2_b32 v[13:14], v23 offset1:35
	ds_read2_b32 v[18:19], v23 offset0:70 offset1:105
	ds_read_b32 v11, v23 offset:560
	s_waitcnt lgkmcnt(0)
	s_barrier
	buffer_gl0_inv
	v_pk_add_f16 v20, v13, v14
	v_pk_add_f16 v29, v18, v19
	v_pk_add_f16 v32, v14, v11 neg_lo:[0,1] neg_hi:[0,1]
	v_pk_add_f16 v33, v18, v19 neg_lo:[0,1] neg_hi:[0,1]
	v_pk_add_f16 v36, v14, v11
	v_pk_add_f16 v34, v14, v18 neg_lo:[0,1] neg_hi:[0,1]
	v_pk_fma_f16 v29, v29, 0.5, v13 op_sel_hi:[1,0,1] neg_lo:[1,0,0] neg_hi:[1,0,0]
	v_pk_mul_f16 v38, 0x3b9c, v32 op_sel_hi:[0,1]
	v_pk_mul_f16 v32, 0x38b4, v32 op_sel_hi:[0,1]
	v_pk_fma_f16 v13, v36, 0.5, v13 op_sel_hi:[1,0,1] neg_lo:[1,0,0] neg_hi:[1,0,0]
	v_pk_mul_f16 v36, 0x3b9c, v33 op_sel_hi:[0,1]
	v_pk_mul_f16 v33, 0x38b4, v33 op_sel_hi:[0,1]
	v_pk_add_f16 v39, v29, v38 op_sel:[0,1] op_sel_hi:[1,0] neg_lo:[0,1] neg_hi:[0,1]
	v_pk_add_f16 v29, v29, v38 op_sel:[0,1] op_sel_hi:[1,0]
	v_pk_add_f16 v35, v11, v19 neg_lo:[0,1] neg_hi:[0,1]
	v_pk_add_f16 v38, v13, v36 op_sel:[0,1] op_sel_hi:[1,0]
	v_pk_add_f16 v13, v13, v36 op_sel:[0,1] op_sel_hi:[1,0] neg_lo:[0,1] neg_hi:[0,1]
	v_pk_add_f16 v14, v18, v14 neg_lo:[0,1] neg_hi:[0,1]
	v_pk_add_f16 v18, v20, v18
	v_pk_add_f16 v20, v39, v33 op_sel:[0,1] op_sel_hi:[1,0] neg_lo:[0,1] neg_hi:[0,1]
	v_pk_add_f16 v29, v29, v33 op_sel:[0,1] op_sel_hi:[1,0]
	v_pk_add_f16 v37, v19, v11 neg_lo:[0,1] neg_hi:[0,1]
	v_pk_add_f16 v33, v38, v32 op_sel:[0,1] op_sel_hi:[1,0] neg_lo:[0,1] neg_hi:[0,1]
	v_pk_add_f16 v13, v13, v32 op_sel:[0,1] op_sel_hi:[1,0]
	v_pk_add_f16 v32, v34, v35
	v_pk_add_f16 v18, v18, v19
	v_bfi_b32 v19, 0xffff, v20, v29
	v_pk_add_f16 v14, v14, v37
	v_bfi_b32 v34, 0xffff, v33, v13
	v_bfi_b32 v13, 0xffff, v13, v33
	;; [unrolled: 1-line block ×3, first 2 shown]
	v_pk_add_f16 v11, v18, v11
	v_pk_fma_f16 v18, 0x34f2, v32, v19 op_sel_hi:[0,1,1]
	v_pk_fma_f16 v19, 0x34f2, v14, v34 op_sel_hi:[0,1,1]
	v_pk_fma_f16 v13, 0x34f2, v14, v13 op_sel_hi:[0,1,1]
	v_pk_fma_f16 v14, 0x34f2, v32, v20 op_sel_hi:[0,1,1]
	ds_write2_b32 v31, v11, v18 offset1:1
	ds_write2_b32 v31, v19, v13 offset0:2 offset1:3
	ds_write_b32 v31, v14 offset:16
	s_waitcnt lgkmcnt(0)
	s_barrier
	buffer_gl0_inv
	ds_read2_b32 v[13:14], v23 offset1:35
	ds_read2_b32 v[19:20], v23 offset0:70 offset1:105
	ds_read_b32 v11, v23 offset:560
	s_waitcnt lgkmcnt(0)
	s_barrier
	buffer_gl0_inv
	v_lshrrev_b32_e32 v29, 16, v14
	v_lshrrev_b32_e32 v31, 16, v19
	;; [unrolled: 1-line block ×3, first 2 shown]
	v_mul_f16_sdwa v34, v0, v14 dst_sel:DWORD dst_unused:UNUSED_PAD src0_sel:WORD_1 src1_sel:DWORD
	v_mul_f16_sdwa v35, v1, v19 dst_sel:DWORD dst_unused:UNUSED_PAD src0_sel:WORD_1 src1_sel:DWORD
	v_lshrrev_b32_e32 v33, 16, v11
	v_mul_f16_sdwa v36, v2, v20 dst_sel:DWORD dst_unused:UNUSED_PAD src0_sel:WORD_1 src1_sel:DWORD
	v_mul_f16_sdwa v37, v3, v11 dst_sel:DWORD dst_unused:UNUSED_PAD src0_sel:WORD_1 src1_sel:DWORD
	;; [unrolled: 1-line block ×3, first 2 shown]
	v_fma_f16 v29, v0, v29, -v34
	v_mul_f16_sdwa v34, v1, v31 dst_sel:DWORD dst_unused:UNUSED_PAD src0_sel:WORD_1 src1_sel:DWORD
	v_fma_f16 v31, v1, v31, -v35
	v_mul_f16_sdwa v35, v2, v32 dst_sel:DWORD dst_unused:UNUSED_PAD src0_sel:WORD_1 src1_sel:DWORD
	;; [unrolled: 2-line block ×3, first 2 shown]
	v_lshrrev_b32_e32 v18, 16, v13
	v_fma_f16 v33, v3, v33, -v37
	v_fmac_f16_e32 v38, v0, v14
	v_fmac_f16_e32 v34, v1, v19
	;; [unrolled: 1-line block ×4, first 2 shown]
	v_add_f16_e32 v0, v18, v29
	v_add_f16_e32 v1, v31, v32
	v_sub_f16_e32 v2, v29, v31
	v_sub_f16_e32 v11, v33, v32
	v_add_f16_e32 v39, v13, v38
	v_add_f16_e32 v40, v34, v35
	v_add_f16_e32 v14, v29, v33
	v_add_f16_e32 v43, v38, v36
	v_sub_f16_e32 v3, v29, v33
	v_sub_f16_e32 v37, v31, v32
	;; [unrolled: 1-line block ×4, first 2 shown]
	v_add_f16_e32 v0, v0, v31
	v_fma_f16 v19, -0.5, v1, v18
	v_sub_f16_e32 v31, v38, v36
	v_add_f16_e32 v46, v2, v11
	v_add_f16_e32 v1, v39, v34
	v_fma_f16 v11, -0.5, v40, v13
	v_sub_f16_e32 v41, v38, v34
	v_sub_f16_e32 v44, v34, v38
	;; [unrolled: 1-line block ×3, first 2 shown]
	v_fmac_f16_e32 v18, -0.5, v14
	v_fmac_f16_e32 v13, -0.5, v43
	v_sub_f16_e32 v42, v36, v35
	v_add_f16_e32 v47, v20, v29
	v_add_f16_e32 v0, v0, v32
	v_fmamk_f16 v29, v31, 0x3b9c, v19
	v_add_f16_e32 v32, v1, v35
	v_fmamk_f16 v1, v3, 0xbb9c, v11
	v_sub_f16_e32 v45, v35, v36
	v_fmamk_f16 v20, v38, 0xbb9c, v18
	v_fmac_f16_e32 v18, 0x3b9c, v38
	v_fmamk_f16 v2, v37, 0x3b9c, v13
	v_fmac_f16_e32 v13, 0xbb9c, v37
	v_fmac_f16_e32 v19, 0xbb9c, v31
	;; [unrolled: 1-line block ×3, first 2 shown]
	v_add_f16_e32 v34, v41, v42
	v_fmac_f16_e32 v29, 0x38b4, v38
	v_fmac_f16_e32 v1, 0xb8b4, v37
	v_add_f16_e32 v39, v44, v45
	v_fmac_f16_e32 v20, 0x38b4, v31
	v_fmac_f16_e32 v18, 0xb8b4, v31
	;; [unrolled: 1-line block ×6, first 2 shown]
	v_add_f16_e32 v14, v0, v33
	v_add_f16_e32 v0, v32, v36
	v_fmac_f16_e32 v29, 0x34f2, v46
	v_fmac_f16_e32 v1, 0x34f2, v34
	;; [unrolled: 1-line block ×8, first 2 shown]
	v_pack_b32_f16 v3, v0, v14
	v_pack_b32_f16 v31, v1, v29
	;; [unrolled: 1-line block ×5, first 2 shown]
	ds_write2_b32 v30, v3, v31 offset1:5
	ds_write2_b32 v30, v32, v33 offset0:10 offset1:15
	ds_write_b32 v30, v34 offset:80
	s_waitcnt lgkmcnt(0)
	s_barrier
	buffer_gl0_inv
	s_and_saveexec_b32 s0, vcc_lo
	s_cbranch_execz .LBB0_7
; %bb.6:
	ds_read2_b32 v[0:1], v23 offset1:25
	ds_read2_b32 v[2:3], v23 offset0:50 offset1:75
	ds_read2_b32 v[11:12], v23 offset0:100 offset1:125
	ds_read_b32 v16, v23 offset:600
	s_waitcnt lgkmcnt(3)
	v_lshrrev_b32_e32 v14, 16, v0
	v_lshrrev_b32_e32 v29, 16, v1
	s_waitcnt lgkmcnt(2)
	v_lshrrev_b32_e32 v20, 16, v2
	v_lshrrev_b32_e32 v18, 16, v3
	;; [unrolled: 3-line block ×3, first 2 shown]
	s_waitcnt lgkmcnt(0)
	v_lshrrev_b32_e32 v17, 16, v16
	v_mov_b32_e32 v13, v3
.LBB0_7:
	s_or_b32 exec_lo, exec_lo, s0
	s_and_saveexec_b32 s0, vcc_lo
	s_cbranch_execz .LBB0_9
; %bb.8:
	v_mul_f16_sdwa v3, v4, v29 dst_sel:DWORD dst_unused:UNUSED_PAD src0_sel:WORD_1 src1_sel:DWORD
	v_mul_f16_sdwa v32, v5, v20 dst_sel:DWORD dst_unused:UNUSED_PAD src0_sel:WORD_1 src1_sel:DWORD
	v_mul_f16_sdwa v33, v9, v15 dst_sel:DWORD dst_unused:UNUSED_PAD src0_sel:WORD_1 src1_sel:DWORD
	v_mul_f16_sdwa v34, v10, v17 dst_sel:DWORD dst_unused:UNUSED_PAD src0_sel:WORD_1 src1_sel:DWORD
	v_mul_f16_sdwa v30, v7, v19 dst_sel:DWORD dst_unused:UNUSED_PAD src0_sel:WORD_1 src1_sel:DWORD
	v_mul_f16_sdwa v31, v6, v18 dst_sel:DWORD dst_unused:UNUSED_PAD src0_sel:WORD_1 src1_sel:DWORD
	v_fmac_f16_e32 v32, v5, v2
	v_fmac_f16_e32 v33, v9, v12
	;; [unrolled: 1-line block ×4, first 2 shown]
	v_mul_f16_sdwa v16, v10, v16 dst_sel:DWORD dst_unused:UNUSED_PAD src0_sel:WORD_1 src1_sel:DWORD
	v_mul_f16_sdwa v1, v4, v1 dst_sel:DWORD dst_unused:UNUSED_PAD src0_sel:WORD_1 src1_sel:DWORD
	;; [unrolled: 1-line block ×4, first 2 shown]
	v_fmac_f16_e32 v30, v7, v11
	v_fmac_f16_e32 v31, v6, v13
	v_fma_f16 v10, v10, v17, -v16
	v_fma_f16 v1, v4, v29, -v1
	v_mul_f16_sdwa v4, v6, v13 dst_sel:DWORD dst_unused:UNUSED_PAD src0_sel:WORD_1 src1_sel:DWORD
	v_mul_f16_sdwa v11, v7, v11 dst_sel:DWORD dst_unused:UNUSED_PAD src0_sel:WORD_1 src1_sel:DWORD
	v_fma_f16 v9, v9, v15, -v12
	v_fma_f16 v2, v5, v20, -v2
	v_sub_f16_e32 v35, v30, v31
	v_sub_f16_e32 v36, v32, v33
	;; [unrolled: 1-line block ×3, first 2 shown]
	v_add_f16_e32 v12, v10, v1
	v_fma_f16 v4, v6, v18, -v4
	v_fma_f16 v6, v7, v19, -v11
	v_add_f16_e32 v7, v9, v2
	v_add_f16_e32 v3, v34, v3
	;; [unrolled: 1-line block ×4, first 2 shown]
	v_sub_f16_e32 v38, v35, v36
	v_add_f16_e32 v13, v4, v6
	v_add_f16_e32 v15, v7, v12
	;; [unrolled: 1-line block ×3, first 2 shown]
	v_sub_f16_e32 v31, v3, v20
	v_sub_f16_e32 v4, v6, v4
	;; [unrolled: 1-line block ×6, first 2 shown]
	v_mul_f16_e32 v17, 0x3846, v38
	v_add_f16_e32 v5, v35, v36
	v_sub_f16_e32 v18, v12, v13
	v_add_f16_e32 v15, v13, v15
	v_add_f16_e32 v29, v20, v29
	v_mul_f16_e32 v6, 0x3a52, v31
	v_sub_f16_e32 v10, v4, v2
	v_sub_f16_e32 v31, v1, v4
	v_add_f16_e32 v4, v4, v2
	v_mul_f16_e32 v35, 0xbb00, v33
	v_sub_f16_e32 v2, v2, v1
	v_sub_f16_e32 v13, v13, v7
	;; [unrolled: 1-line block ×3, first 2 shown]
	v_fmamk_f16 v11, v16, 0xb574, v17
	v_mul_f16_e32 v18, 0x3a52, v18
	v_add_f16_e32 v14, v14, v15
	v_add_f16_e32 v0, v0, v29
	v_mul_f16_e32 v10, 0x3846, v10
	v_sub_f16_e32 v7, v7, v12
	v_sub_f16_e32 v3, v19, v3
	v_add_f16_e32 v1, v4, v1
	v_fma_f16 v4, v16, 0x3574, -v35
	v_mul_f16_e32 v16, 0xbb00, v2
	v_mul_f16_e32 v30, 0x2b26, v13
	v_fmamk_f16 v20, v9, 0x2b26, v6
	v_mul_f16_e32 v9, 0x2b26, v9
	v_add_f16_e32 v5, v5, v37
	v_fmamk_f16 v13, v13, 0x2b26, v18
	v_fmamk_f16 v15, v15, 0xbcab, v14
	;; [unrolled: 1-line block ×4, first 2 shown]
	v_fma_f16 v12, v7, 0xb9e0, -v18
	v_fma_f16 v6, v3, 0xb9e0, -v6
	;; [unrolled: 1-line block ×7, first 2 shown]
	v_fmac_f16_e32 v11, 0xb70e, v5
	v_add_f16_e32 v13, v13, v15
	v_add_f16_e32 v20, v20, v29
	v_fmac_f16_e32 v34, 0xb70e, v1
	v_fmac_f16_e32 v4, 0xb70e, v5
	v_add_f16_e32 v12, v12, v15
	v_add_f16_e32 v6, v6, v29
	v_fmac_f16_e32 v16, 0xb70e, v1
	v_add_f16_e32 v7, v7, v15
	v_fmac_f16_e32 v17, 0xb70e, v5
	v_fmac_f16_e32 v2, 0xb70e, v1
	v_add_f16_e32 v1, v3, v29
	v_add_f16_e32 v32, v11, v13
	;; [unrolled: 1-line block ×3, first 2 shown]
	v_sub_f16_e32 v9, v6, v16
	v_sub_f16_e32 v4, v12, v4
	;; [unrolled: 1-line block ×3, first 2 shown]
	v_add_f16_e32 v12, v34, v20
	v_add_f16_e32 v6, v16, v6
	v_sub_f16_e32 v10, v7, v17
	v_add_f16_e32 v15, v2, v1
	v_add_f16_e32 v7, v17, v7
	v_sub_f16_e32 v1, v1, v2
	v_sub_f16_e32 v3, v20, v34
	v_pack_b32_f16 v0, v0, v14
	v_lshl_add_u32 v2, v24, 2, v28
	v_pack_b32_f16 v11, v12, v11
	v_pack_b32_f16 v4, v6, v4
	;; [unrolled: 1-line block ×6, first 2 shown]
	ds_write_b32 v23, v0
	ds_write2_b32 v2, v11, v4 offset0:25 offset1:50
	ds_write2_b32 v2, v1, v6 offset0:75 offset1:100
	;; [unrolled: 1-line block ×3, first 2 shown]
.LBB0_9:
	s_or_b32 exec_lo, exec_lo, s0
	s_waitcnt lgkmcnt(0)
	s_barrier
	buffer_gl0_inv
	ds_read2_b32 v[0:1], v23 offset1:35
	ds_read2_b32 v[2:3], v23 offset0:70 offset1:105
	s_mov_b32 s4, 0xe434a9b1
	s_mov_b32 s5, 0x3f7767dc
	s_waitcnt lgkmcnt(1)
	v_lshrrev_b32_e32 v4, 16, v0
	v_mul_f16_sdwa v5, v25, v0 dst_sel:DWORD dst_unused:UNUSED_PAD src0_sel:WORD_1 src1_sel:DWORD
	v_lshrrev_b32_e32 v6, 16, v1
	v_mul_f16_sdwa v7, v27, v1 dst_sel:DWORD dst_unused:UNUSED_PAD src0_sel:WORD_1 src1_sel:DWORD
	s_waitcnt lgkmcnt(0)
	v_lshrrev_b32_e32 v19, 16, v2
	v_mul_f16_sdwa v9, v25, v4 dst_sel:DWORD dst_unused:UNUSED_PAD src0_sel:WORD_1 src1_sel:DWORD
	v_fma_f16 v4, v25, v4, -v5
	v_mul_f16_sdwa v13, v27, v6 dst_sel:DWORD dst_unused:UNUSED_PAD src0_sel:WORD_1 src1_sel:DWORD
	v_fma_f16 v5, v27, v6, -v7
	v_mul_f16_sdwa v14, v26, v19 dst_sel:DWORD dst_unused:UNUSED_PAD src0_sel:WORD_1 src1_sel:DWORD
	v_fmac_f16_e32 v9, v25, v0
	v_cvt_f32_f16_e32 v0, v4
	v_fmac_f16_e32 v13, v27, v1
	v_cvt_f32_f16_e32 v10, v5
	;; [unrolled: 2-line block ×3, first 2 shown]
	v_cvt_f64_f32_e32 v[4:5], v0
	v_cvt_f32_f16_e32 v13, v13
	v_cvt_f64_f32_e32 v[9:10], v10
	v_mad_u64_u32 v[6:7], null, s10, v8, 0
	v_cvt_f64_f32_e32 v[0:1], v11
	v_cvt_f32_f16_e32 v15, v14
	v_cvt_f64_f32_e32 v[13:14], v13
	v_mad_u64_u32 v[11:12], null, s8, v24, 0
	v_mul_f16_sdwa v2, v26, v2 dst_sel:DWORD dst_unused:UNUSED_PAD src0_sel:WORD_1 src1_sel:DWORD
	v_mad_u64_u32 v[7:8], null, s11, v8, v[7:8]
	v_cvt_f64_f32_e32 v[15:16], v15
	v_fma_f16 v2, v26, v19, -v2
	v_lshlrev_b64 v[6:7], 2, v[6:7]
	v_mul_f64 v[4:5], v[4:5], s[4:5]
	v_mul_f64 v[8:9], v[9:10], s[4:5]
	v_add_co_u32 v10, vcc_lo, s2, v6
	v_mul_f64 v[0:1], v[0:1], s[4:5]
	v_mad_u64_u32 v[17:18], null, s9, v24, v[12:13]
	v_mul_f64 v[13:14], v[13:14], s[4:5]
	v_mov_b32_e32 v12, v17
	v_add_co_ci_u32_e32 v17, vcc_lo, s3, v7, vcc_lo
	v_mul_f64 v[6:7], v[15:16], s[4:5]
	s_mul_i32 s3, s8, 0x8c
	v_and_or_b32 v4, 0x1ff, v5, v4
	v_lshrrev_b32_e32 v15, 8, v5
	v_and_or_b32 v8, 0x1ff, v9, v8
	v_bfe_u32 v16, v5, 20, 11
	v_bfe_u32 v19, v9, 20, 11
	v_cmp_ne_u32_e32 vcc_lo, 0, v4
	v_and_or_b32 v0, 0x1ff, v1, v0
	v_lshrrev_b32_e32 v20, 8, v1
	v_bfe_u32 v24, v1, 20, 11
	v_and_or_b32 v13, 0x1ff, v14, v13
	v_cndmask_b32_e64 v4, 0, 1, vcc_lo
	v_cmp_ne_u32_e32 vcc_lo, 0, v8
	v_lshrrev_b32_e32 v18, 8, v9
	v_sub_nc_u32_e32 v29, 0x3f1, v24
	v_sub_nc_u32_e32 v25, 0x3f1, v16
	v_lshrrev_b32_e32 v26, 8, v14
	v_cndmask_b32_e64 v8, 0, 1, vcc_lo
	v_cmp_ne_u32_e32 vcc_lo, 0, v0
	v_bfe_u32 v27, v14, 20, 11
	v_sub_nc_u32_e32 v28, 0x3f1, v19
	v_and_or_b32 v4, 0xffe, v15, v4
	v_add_nc_u32_e32 v16, 0xfffffc10, v16
	v_cndmask_b32_e64 v0, 0, 1, vcc_lo
	v_cmp_ne_u32_e32 vcc_lo, 0, v13
	v_med3_i32 v15, v25, 0, 13
	v_sub_nc_u32_e32 v25, 0x3f1, v27
	v_and_or_b32 v8, 0xffe, v18, v8
	v_and_or_b32 v0, 0xffe, v20, v0
	v_cndmask_b32_e64 v13, 0, 1, vcc_lo
	v_med3_i32 v20, v29, 0, 13
	v_med3_i32 v18, v28, 0, 13
	v_or_b32_e32 v28, 0x1000, v4
	v_or_b32_e32 v30, 0x1000, v0
	v_cmp_ne_u32_e32 vcc_lo, 0, v4
	v_and_or_b32 v13, 0xffe, v26, v13
	v_add_nc_u32_e32 v24, 0xfffffc10, v24
	v_lshl_or_b32 v29, v16, 12, v4
	v_lshrrev_b32_e32 v26, v20, v30
	v_cndmask_b32_e64 v4, 0, 1, vcc_lo
	v_med3_i32 v25, v25, 0, 13
	v_lshrrev_b32_e32 v33, v15, v28
	v_or_b32_e32 v34, 0x1000, v13
	v_lshlrev_b32_e32 v20, v20, v26
	v_cmp_ne_u32_e32 vcc_lo, 0, v0
	v_lshl_or_b32 v32, v24, 12, v0
	v_lshlrev_b32_e32 v15, v15, v33
	v_lshrrev_b32_e32 v35, v25, v34
	v_add_nc_u32_e32 v27, 0xfffffc10, v27
	v_cndmask_b32_e64 v0, 0, 1, vcc_lo
	v_cmp_ne_u32_e32 vcc_lo, v20, v30
	v_lshrrev_b32_e32 v1, 16, v1
	v_lshlrev_b32_e32 v25, v25, v35
	v_or_b32_e32 v31, 0x1000, v8
	v_lshl_or_b32 v0, v0, 9, 0x7c00
	v_cndmask_b32_e64 v20, 0, 1, vcc_lo
	v_cmp_ne_u32_e32 vcc_lo, v15, v28
	v_lshl_or_b32 v28, v27, 12, v13
	v_lshl_or_b32 v4, v4, 9, 0x7c00
	v_lshrrev_b32_e32 v5, 16, v5
	v_or_b32_e32 v20, v26, v20
	v_cndmask_b32_e64 v15, 0, 1, vcc_lo
	v_cmp_ne_u32_e32 vcc_lo, v25, v34
	v_lshrrev_b32_e32 v30, v18, v31
	v_lshrrev_b32_e32 v14, 16, v14
	v_or_b32_e32 v15, v33, v15
	v_cndmask_b32_e64 v25, 0, 1, vcc_lo
	v_cmp_gt_i32_e32 vcc_lo, 1, v24
	v_lshlrev_b32_e32 v18, v18, v30
	v_or_b32_e32 v25, v35, v25
	v_cndmask_b32_e32 v20, v32, v20, vcc_lo
	v_cmp_gt_i32_e32 vcc_lo, 1, v16
	v_and_b32_e32 v26, 7, v20
	v_cndmask_b32_e32 v15, v29, v15, vcc_lo
	v_cmp_gt_i32_e32 vcc_lo, 1, v27
	v_lshrrev_b32_e32 v20, 2, v20
	v_cmp_eq_u32_e64 s0, 3, v26
	v_and_b32_e32 v29, 7, v15
	v_cndmask_b32_e32 v25, v28, v25, vcc_lo
	v_cmp_lt_i32_e32 vcc_lo, 5, v26
	v_lshrrev_b32_e32 v15, 2, v15
	v_cmp_lt_i32_e64 s1, 5, v29
	v_cmp_eq_u32_e64 s2, 3, v29
	s_or_b32 vcc_lo, s0, vcc_lo
	v_cmp_gt_i32_e64 s0, 31, v16
	v_add_co_ci_u32_e32 v20, vcc_lo, 0, v20, vcc_lo
	s_or_b32 vcc_lo, s2, s1
	v_and_b32_e32 v26, 7, v25
	v_add_co_ci_u32_e32 v15, vcc_lo, 0, v15, vcc_lo
	v_cmp_gt_i32_e32 vcc_lo, 31, v24
	v_cmp_eq_u32_e64 s1, 0x40f, v16
	v_add_nc_u32_e32 v16, 0xfffffc10, v19
	v_cndmask_b32_e64 v15, 0x7c00, v15, s0
	v_cmp_eq_u32_e64 s0, 0x40f, v24
	v_cndmask_b32_e32 v20, 0x7c00, v20, vcc_lo
	v_cmp_lt_i32_e32 vcc_lo, 5, v26
	v_bfe_u32 v19, v7, 20, 11
	v_cndmask_b32_e64 v4, v15, v4, s1
	s_mul_i32 s1, s9, 0x8c
	v_cndmask_b32_e64 v0, v20, v0, s0
	v_cmp_eq_u32_e64 s0, 3, v26
	v_lshrrev_b32_e32 v20, 2, v25
	v_and_or_b32 v4, 0x8000, v5, v4
	s_mul_hi_u32 s2, s8, 0x8c
	v_and_or_b32 v0, 0x8000, v1, v0
	s_or_b32 vcc_lo, s0, vcc_lo
	s_add_i32 s2, s2, s1
	v_add_co_ci_u32_e32 v1, vcc_lo, 0, v20, vcc_lo
	v_cmp_ne_u32_e32 vcc_lo, 0, v13
	v_and_b32_e32 v0, 0xffff, v0
	v_cndmask_b32_e64 v5, 0, 1, vcc_lo
	v_cmp_gt_i32_e32 vcc_lo, 31, v27
	v_lshl_or_b32 v15, v4, 16, v0
	v_lshl_or_b32 v4, v5, 9, 0x7c00
	v_cndmask_b32_e32 v13, 0x7c00, v1, vcc_lo
	v_cmp_ne_u32_e32 vcc_lo, v18, v31
	v_cvt_f32_f16_e32 v1, v2
	v_and_or_b32 v2, 0x1ff, v7, v6
	v_lshl_or_b32 v6, v16, 12, v8
	v_lshrrev_b32_e32 v18, 8, v7
	v_cndmask_b32_e64 v0, 0, 1, vcc_lo
	v_cmp_ne_u32_e32 vcc_lo, 0, v2
	v_or_b32_e32 v5, v30, v0
	v_cvt_f64_f32_e32 v[0:1], v1
	v_cndmask_b32_e64 v2, 0, 1, vcc_lo
	v_cmp_gt_i32_e32 vcc_lo, 1, v16
	v_and_or_b32 v2, 0xffe, v18, v2
	v_cndmask_b32_e32 v6, v6, v5, vcc_lo
	v_cmp_eq_u32_e32 vcc_lo, 0x40f, v27
	v_sub_nc_u32_e32 v18, 0x3f1, v19
	v_and_b32_e32 v20, 7, v6
	v_cndmask_b32_e32 v13, v13, v4, vcc_lo
	v_lshrrev_b32_e32 v6, 2, v6
	v_lshlrev_b64 v[4:5], 2, v[11:12]
	v_or_b32_e32 v11, 0x1000, v2
	v_cmp_lt_i32_e32 vcc_lo, 5, v20
	v_cmp_eq_u32_e64 s0, 3, v20
	v_med3_i32 v12, v18, 0, 13
	v_and_or_b32 v13, 0x8000, v14, v13
	v_lshrrev_b32_e32 v18, 16, v3
	v_mul_f64 v[0:1], v[0:1], s[4:5]
	s_or_b32 vcc_lo, s0, vcc_lo
	v_lshrrev_b32_e32 v14, v12, v11
	v_add_co_ci_u32_e32 v6, vcc_lo, 0, v6, vcc_lo
	v_cmp_ne_u32_e32 vcc_lo, 0, v8
	v_mul_f16_sdwa v20, v22, v18 dst_sel:DWORD dst_unused:UNUSED_PAD src0_sel:WORD_1 src1_sel:DWORD
	v_lshlrev_b32_e32 v12, v12, v14
	v_and_b32_e32 v13, 0xffff, v13
	v_cndmask_b32_e64 v8, 0, 1, vcc_lo
	v_cmp_gt_i32_e32 vcc_lo, 31, v16
	v_fmac_f16_e32 v20, v22, v3
	v_mul_f16_sdwa v3, v22, v3 dst_sel:DWORD dst_unused:UNUSED_PAD src0_sel:WORD_1 src1_sel:DWORD
	v_lshl_or_b32 v8, v8, 9, 0x7c00
	v_cndmask_b32_e32 v6, 0x7c00, v6, vcc_lo
	v_cmp_ne_u32_e32 vcc_lo, v12, v11
	v_add_nc_u32_e32 v12, 0xfffffc10, v19
	v_cvt_f32_f16_e32 v19, v20
	v_fma_f16 v3, v22, v18, -v3
	v_lshrrev_b32_e32 v18, 16, v7
	v_cndmask_b32_e64 v11, 0, 1, vcc_lo
	v_cmp_eq_u32_e32 vcc_lo, 0x40f, v16
	v_lshrrev_b32_e32 v16, 16, v9
	v_and_or_b32 v0, 0x1ff, v1, v0
	v_or_b32_e32 v11, v14, v11
	v_cndmask_b32_e32 v6, v6, v8, vcc_lo
	v_cvt_f64_f32_e32 v[8:9], v19
	v_lshl_or_b32 v14, v12, 12, v2
	v_cmp_gt_i32_e32 vcc_lo, 1, v12
	v_and_or_b32 v6, 0x8000, v16, v6
	v_bfe_u32 v16, v1, 20, 11
	v_cndmask_b32_e32 v11, v14, v11, vcc_lo
	v_cmp_ne_u32_e32 vcc_lo, 0, v0
	v_lshrrev_b32_e32 v14, 8, v1
	v_lshl_or_b32 v13, v6, 16, v13
	v_sub_nc_u32_e32 v6, 0x3f1, v16
	v_cndmask_b32_e64 v0, 0, 1, vcc_lo
	v_add_co_u32 v4, vcc_lo, v10, v4
	v_and_b32_e32 v10, 7, v11
	v_add_co_ci_u32_e32 v5, vcc_lo, v17, v5, vcc_lo
	v_and_or_b32 v0, 0xffe, v14, v0
	v_med3_i32 v6, v6, 0, 13
	v_cmp_lt_i32_e32 vcc_lo, 5, v10
	v_cmp_eq_u32_e64 s0, 3, v10
	v_mul_f64 v[8:9], v[8:9], s[4:5]
	v_lshrrev_b32_e32 v10, 2, v11
	v_or_b32_e32 v14, 0x1000, v0
	ds_read_b32 v17, v23 offset:560
	s_or_b32 vcc_lo, s0, vcc_lo
	v_add_co_ci_u32_e32 v10, vcc_lo, 0, v10, vcc_lo
	v_lshrrev_b32_e32 v11, v6, v14
	v_cmp_ne_u32_e32 vcc_lo, 0, v2
	v_lshlrev_b32_e32 v6, v6, v11
	v_cndmask_b32_e64 v2, 0, 1, vcc_lo
	v_cmp_gt_i32_e32 vcc_lo, 31, v12
	v_lshl_or_b32 v2, v2, 9, 0x7c00
	v_cndmask_b32_e32 v10, 0x7c00, v10, vcc_lo
	v_cmp_ne_u32_e32 vcc_lo, v6, v14
	v_and_or_b32 v8, 0x1ff, v9, v8
	v_add_nc_u32_e32 v14, 0xfffffc10, v16
	v_bfe_u32 v16, v9, 20, 11
	v_cndmask_b32_e64 v6, 0, 1, vcc_lo
	v_cmp_eq_u32_e32 vcc_lo, 0x40f, v12
	v_lshrrev_b32_e32 v12, 8, v9
	v_lshrrev_b32_e32 v9, 16, v9
	v_or_b32_e32 v6, v11, v6
	v_cndmask_b32_e32 v10, v10, v2, vcc_lo
	v_cmp_ne_u32_e32 vcc_lo, 0, v8
	v_cvt_f32_f16_e32 v2, v3
	v_lshl_or_b32 v11, v14, 12, v0
	v_and_or_b32 v18, 0x8000, v18, v10
	v_cndmask_b32_e64 v8, 0, 1, vcc_lo
	v_cmp_gt_i32_e32 vcc_lo, 1, v14
	v_cvt_f64_f32_e32 v[2:3], v2
	v_and_or_b32 v8, 0xffe, v12, v8
	v_cndmask_b32_e32 v11, v11, v6, vcc_lo
	v_sub_nc_u32_e32 v6, 0x3f1, v16
	s_waitcnt lgkmcnt(0)
	v_lshrrev_b32_e32 v12, 16, v17
	v_add_nc_u32_e32 v16, 0xfffffc10, v16
	v_or_b32_e32 v20, 0x1000, v8
	v_and_b32_e32 v19, 7, v11
	v_med3_i32 v22, v6, 0, 13
	v_mul_f16_sdwa v23, v21, v12 dst_sel:DWORD dst_unused:UNUSED_PAD src0_sel:WORD_1 src1_sel:DWORD
	v_add_co_u32 v6, vcc_lo, v4, s3
	v_add_co_ci_u32_e32 v7, vcc_lo, s2, v5, vcc_lo
	v_lshrrev_b32_e32 v24, v22, v20
	v_fmac_f16_e32 v23, v21, v17
	v_cmp_lt_i32_e32 vcc_lo, 5, v19
	v_cmp_eq_u32_e64 s0, 3, v19
	v_lshrrev_b32_e32 v10, 2, v11
	v_lshlrev_b32_e32 v19, v22, v24
	v_cvt_f32_f16_e32 v11, v23
	v_mul_f64 v[2:3], v[2:3], s[4:5]
	s_or_b32 vcc_lo, s0, vcc_lo
	v_mul_f16_sdwa v17, v21, v17 dst_sel:DWORD dst_unused:UNUSED_PAD src0_sel:WORD_1 src1_sel:DWORD
	v_add_co_ci_u32_e32 v22, vcc_lo, 0, v10, vcc_lo
	v_cmp_ne_u32_e32 vcc_lo, v19, v20
	v_cvt_f64_f32_e32 v[10:11], v11
	v_lshl_or_b32 v20, v16, 12, v8
	v_fma_f16 v12, v21, v12, -v17
	v_cndmask_b32_e64 v19, 0, 1, vcc_lo
	v_cmp_ne_u32_e32 vcc_lo, 0, v0
	v_cvt_f32_f16_e32 v12, v12
	v_or_b32_e32 v19, v24, v19
	v_cndmask_b32_e64 v0, 0, 1, vcc_lo
	v_cmp_gt_i32_e32 vcc_lo, 31, v14
	v_lshl_or_b32 v0, v0, 9, 0x7c00
	v_cndmask_b32_e32 v17, 0x7c00, v22, vcc_lo
	v_cmp_gt_i32_e32 vcc_lo, 1, v16
	v_and_or_b32 v2, 0x1ff, v3, v2
	v_bfe_u32 v21, v3, 20, 11
	v_cndmask_b32_e32 v19, v20, v19, vcc_lo
	v_cmp_eq_u32_e32 vcc_lo, 0x40f, v14
	v_mul_f64 v[10:11], v[10:11], s[4:5]
	v_lshrrev_b32_e32 v20, 8, v3
	v_lshrrev_b32_e32 v3, 16, v3
	v_cndmask_b32_e32 v14, v17, v0, vcc_lo
	v_lshrrev_b32_e32 v17, 16, v1
	v_cvt_f64_f32_e32 v[0:1], v12
	v_cmp_ne_u32_e32 vcc_lo, 0, v2
	v_and_b32_e32 v12, 7, v19
	v_and_or_b32 v14, 0x8000, v17, v14
	v_and_b32_e32 v17, 0xffff, v18
	v_cndmask_b32_e64 v2, 0, 1, vcc_lo
	v_cmp_lt_i32_e32 vcc_lo, 5, v12
	v_cmp_eq_u32_e64 s0, 3, v12
	v_sub_nc_u32_e32 v18, 0x3f1, v21
	v_lshl_or_b32 v12, v14, 16, v17
	v_lshrrev_b32_e32 v14, 2, v19
	v_and_or_b32 v2, 0xffe, v20, v2
	s_or_b32 vcc_lo, s0, vcc_lo
	v_med3_i32 v18, v18, 0, 13
	v_add_co_ci_u32_e32 v14, vcc_lo, 0, v14, vcc_lo
	v_or_b32_e32 v17, 0x1000, v2
	v_cmp_ne_u32_e32 vcc_lo, 0, v8
	v_and_or_b32 v10, 0x1ff, v11, v10
	v_lshrrev_b32_e32 v20, 8, v11
	v_mul_f64 v[0:1], v[0:1], s[4:5]
	v_lshrrev_b32_e32 v19, v18, v17
	v_cndmask_b32_e64 v8, 0, 1, vcc_lo
	v_cmp_gt_i32_e32 vcc_lo, 31, v16
	v_bfe_u32 v22, v11, 20, 11
	v_lshrrev_b32_e32 v11, 16, v11
	v_lshlrev_b32_e32 v18, v18, v19
	v_lshl_or_b32 v8, v8, 9, 0x7c00
	v_cndmask_b32_e32 v14, 0x7c00, v14, vcc_lo
	v_cmp_ne_u32_e32 vcc_lo, 0, v10
	v_cndmask_b32_e64 v10, 0, 1, vcc_lo
	v_cmp_ne_u32_e32 vcc_lo, v18, v17
	v_add_nc_u32_e32 v18, 0xfffffc10, v21
	v_and_or_b32 v10, 0xffe, v20, v10
	v_cndmask_b32_e64 v17, 0, 1, vcc_lo
	v_sub_nc_u32_e32 v20, 0x3f1, v22
	v_cmp_eq_u32_e32 vcc_lo, 0x40f, v16
	v_lshl_or_b32 v16, v18, 12, v2
	v_and_or_b32 v0, 0x1ff, v1, v0
	v_bfe_u32 v21, v1, 20, 11
	v_cndmask_b32_e32 v8, v14, v8, vcc_lo
	v_or_b32_e32 v14, v19, v17
	v_or_b32_e32 v17, 0x1000, v10
	v_med3_i32 v19, v20, 0, 13
	v_cmp_gt_i32_e32 vcc_lo, 1, v18
	v_lshrrev_b32_e32 v20, 8, v1
	v_and_or_b32 v8, 0x8000, v9, v8
	v_sub_nc_u32_e32 v9, 0x3f1, v21
	v_cndmask_b32_e32 v14, v16, v14, vcc_lo
	v_lshrrev_b32_e32 v16, v19, v17
	v_cmp_ne_u32_e32 vcc_lo, 0, v0
	v_med3_i32 v9, v9, 0, 13
	v_and_b32_e32 v23, 7, v14
	v_lshlrev_b32_e32 v19, v19, v16
	v_cndmask_b32_e64 v0, 0, 1, vcc_lo
	v_lshrrev_b32_e32 v14, 2, v14
	v_cmp_lt_i32_e32 vcc_lo, 5, v23
	v_cmp_ne_u32_e64 s0, v19, v17
	v_and_or_b32 v0, 0xffe, v20, v0
	v_add_nc_u32_e32 v20, 0xfffffc10, v22
	v_cndmask_b32_e64 v17, 0, 1, s0
	v_cmp_eq_u32_e64 s0, 3, v23
	v_or_b32_e32 v19, 0x1000, v0
	v_lshl_or_b32 v22, v20, 12, v10
	v_or_b32_e32 v16, v16, v17
	s_or_b32 vcc_lo, s0, vcc_lo
	v_lshrrev_b32_e32 v17, v9, v19
	v_add_co_ci_u32_e32 v14, vcc_lo, 0, v14, vcc_lo
	v_cmp_gt_i32_e32 vcc_lo, 1, v20
	v_lshlrev_b32_e32 v9, v9, v17
	v_cndmask_b32_e32 v16, v22, v16, vcc_lo
	v_cmp_ne_u32_e32 vcc_lo, 0, v2
	v_cndmask_b32_e64 v2, 0, 1, vcc_lo
	v_cmp_ne_u32_e32 vcc_lo, v9, v19
	v_add_nc_u32_e32 v19, 0xfffffc10, v21
	v_and_b32_e32 v21, 7, v16
	v_lshl_or_b32 v2, v2, 9, 0x7c00
	v_cndmask_b32_e64 v9, 0, 1, vcc_lo
	v_cmp_gt_i32_e32 vcc_lo, 31, v18
	v_cmp_gt_i32_e64 s1, 1, v19
	v_cmp_eq_u32_e64 s0, 3, v21
	v_or_b32_e32 v9, v17, v9
	v_lshl_or_b32 v17, v19, 12, v0
	v_cndmask_b32_e32 v14, 0x7c00, v14, vcc_lo
	v_cmp_lt_i32_e32 vcc_lo, 5, v21
	v_cndmask_b32_e64 v9, v17, v9, s1
	v_cmp_eq_u32_e64 s1, 0x40f, v18
	s_or_b32 vcc_lo, s0, vcc_lo
	v_cndmask_b32_e64 v2, v14, v2, s1
	v_lshrrev_b32_e32 v14, 2, v16
	v_and_b32_e32 v16, 7, v9
	v_lshrrev_b32_e32 v9, 2, v9
	v_cmp_gt_i32_e64 s1, 31, v20
	v_and_or_b32 v2, 0x8000, v3, v2
	v_add_co_ci_u32_e32 v14, vcc_lo, 0, v14, vcc_lo
	v_cmp_ne_u32_e32 vcc_lo, 0, v10
	v_cmp_eq_u32_e64 s0, 3, v16
	v_and_b32_e32 v3, 0xffff, v8
	v_cndmask_b32_e64 v14, 0x7c00, v14, s1
	v_cndmask_b32_e64 v10, 0, 1, vcc_lo
	v_cmp_lt_i32_e32 vcc_lo, 5, v16
	v_lshl_or_b32 v10, v10, 9, 0x7c00
	s_or_b32 vcc_lo, s0, vcc_lo
	v_add_co_ci_u32_e32 v9, vcc_lo, 0, v9, vcc_lo
	v_cmp_ne_u32_e32 vcc_lo, 0, v0
	v_cndmask_b32_e64 v0, 0, 1, vcc_lo
	v_cmp_eq_u32_e32 vcc_lo, 0x40f, v20
	v_lshl_or_b32 v0, v0, 9, 0x7c00
	v_cndmask_b32_e32 v10, v14, v10, vcc_lo
	v_cmp_gt_i32_e32 vcc_lo, 31, v19
	v_and_or_b32 v8, 0x8000, v11, v10
	v_cndmask_b32_e32 v9, 0x7c00, v9, vcc_lo
	v_cmp_eq_u32_e32 vcc_lo, 0x40f, v19
	v_lshrrev_b32_e32 v10, 16, v1
	v_lshl_or_b32 v11, v2, 16, v3
	v_and_b32_e32 v8, 0xffff, v8
	v_cndmask_b32_e32 v9, v9, v0, vcc_lo
	v_add_co_u32 v0, vcc_lo, v6, s3
	v_add_co_ci_u32_e32 v1, vcc_lo, s2, v7, vcc_lo
	v_and_or_b32 v9, 0x8000, v10, v9
	v_add_co_u32 v2, vcc_lo, v0, s3
	v_add_co_ci_u32_e32 v3, vcc_lo, s2, v1, vcc_lo
	v_lshl_or_b32 v10, v9, 16, v8
	v_add_co_u32 v8, vcc_lo, v2, s3
	v_add_co_ci_u32_e32 v9, vcc_lo, s2, v3, vcc_lo
	global_store_dword v[4:5], v15, off
	global_store_dword v[6:7], v13, off
	global_store_dword v[0:1], v12, off
	global_store_dword v[2:3], v11, off
	global_store_dword v[8:9], v10, off
.LBB0_10:
	s_endpgm
	.section	.rodata,"a",@progbits
	.p2align	6, 0x0
	.amdhsa_kernel bluestein_single_fwd_len175_dim1_half_op_CI_CI
		.amdhsa_group_segment_fixed_size 4900
		.amdhsa_private_segment_fixed_size 0
		.amdhsa_kernarg_size 104
		.amdhsa_user_sgpr_count 6
		.amdhsa_user_sgpr_private_segment_buffer 1
		.amdhsa_user_sgpr_dispatch_ptr 0
		.amdhsa_user_sgpr_queue_ptr 0
		.amdhsa_user_sgpr_kernarg_segment_ptr 1
		.amdhsa_user_sgpr_dispatch_id 0
		.amdhsa_user_sgpr_flat_scratch_init 0
		.amdhsa_user_sgpr_private_segment_size 0
		.amdhsa_wavefront_size32 1
		.amdhsa_uses_dynamic_stack 0
		.amdhsa_system_sgpr_private_segment_wavefront_offset 0
		.amdhsa_system_sgpr_workgroup_id_x 1
		.amdhsa_system_sgpr_workgroup_id_y 0
		.amdhsa_system_sgpr_workgroup_id_z 0
		.amdhsa_system_sgpr_workgroup_info 0
		.amdhsa_system_vgpr_workitem_id 0
		.amdhsa_next_free_vgpr 50
		.amdhsa_next_free_sgpr 20
		.amdhsa_reserve_vcc 1
		.amdhsa_reserve_flat_scratch 0
		.amdhsa_float_round_mode_32 0
		.amdhsa_float_round_mode_16_64 0
		.amdhsa_float_denorm_mode_32 3
		.amdhsa_float_denorm_mode_16_64 3
		.amdhsa_dx10_clamp 1
		.amdhsa_ieee_mode 1
		.amdhsa_fp16_overflow 0
		.amdhsa_workgroup_processor_mode 1
		.amdhsa_memory_ordered 1
		.amdhsa_forward_progress 0
		.amdhsa_shared_vgpr_count 0
		.amdhsa_exception_fp_ieee_invalid_op 0
		.amdhsa_exception_fp_denorm_src 0
		.amdhsa_exception_fp_ieee_div_zero 0
		.amdhsa_exception_fp_ieee_overflow 0
		.amdhsa_exception_fp_ieee_underflow 0
		.amdhsa_exception_fp_ieee_inexact 0
		.amdhsa_exception_int_div_zero 0
	.end_amdhsa_kernel
	.text
.Lfunc_end0:
	.size	bluestein_single_fwd_len175_dim1_half_op_CI_CI, .Lfunc_end0-bluestein_single_fwd_len175_dim1_half_op_CI_CI
                                        ; -- End function
	.section	.AMDGPU.csdata,"",@progbits
; Kernel info:
; codeLenInByte = 7772
; NumSgprs: 22
; NumVgprs: 50
; ScratchSize: 0
; MemoryBound: 0
; FloatMode: 240
; IeeeMode: 1
; LDSByteSize: 4900 bytes/workgroup (compile time only)
; SGPRBlocks: 2
; VGPRBlocks: 6
; NumSGPRsForWavesPerEU: 22
; NumVGPRsForWavesPerEU: 50
; Occupancy: 16
; WaveLimiterHint : 1
; COMPUTE_PGM_RSRC2:SCRATCH_EN: 0
; COMPUTE_PGM_RSRC2:USER_SGPR: 6
; COMPUTE_PGM_RSRC2:TRAP_HANDLER: 0
; COMPUTE_PGM_RSRC2:TGID_X_EN: 1
; COMPUTE_PGM_RSRC2:TGID_Y_EN: 0
; COMPUTE_PGM_RSRC2:TGID_Z_EN: 0
; COMPUTE_PGM_RSRC2:TIDIG_COMP_CNT: 0
	.text
	.p2alignl 6, 3214868480
	.fill 48, 4, 3214868480
	.type	__hip_cuid_db8be17b324472bb,@object ; @__hip_cuid_db8be17b324472bb
	.section	.bss,"aw",@nobits
	.globl	__hip_cuid_db8be17b324472bb
__hip_cuid_db8be17b324472bb:
	.byte	0                               ; 0x0
	.size	__hip_cuid_db8be17b324472bb, 1

	.ident	"AMD clang version 19.0.0git (https://github.com/RadeonOpenCompute/llvm-project roc-6.4.0 25133 c7fe45cf4b819c5991fe208aaa96edf142730f1d)"
	.section	".note.GNU-stack","",@progbits
	.addrsig
	.addrsig_sym __hip_cuid_db8be17b324472bb
	.amdgpu_metadata
---
amdhsa.kernels:
  - .args:
      - .actual_access:  read_only
        .address_space:  global
        .offset:         0
        .size:           8
        .value_kind:     global_buffer
      - .actual_access:  read_only
        .address_space:  global
        .offset:         8
        .size:           8
        .value_kind:     global_buffer
      - .actual_access:  read_only
        .address_space:  global
        .offset:         16
        .size:           8
        .value_kind:     global_buffer
      - .actual_access:  read_only
        .address_space:  global
        .offset:         24
        .size:           8
        .value_kind:     global_buffer
      - .actual_access:  read_only
        .address_space:  global
        .offset:         32
        .size:           8
        .value_kind:     global_buffer
      - .offset:         40
        .size:           8
        .value_kind:     by_value
      - .address_space:  global
        .offset:         48
        .size:           8
        .value_kind:     global_buffer
      - .address_space:  global
        .offset:         56
        .size:           8
        .value_kind:     global_buffer
      - .address_space:  global
        .offset:         64
        .size:           8
        .value_kind:     global_buffer
      - .address_space:  global
        .offset:         72
        .size:           8
        .value_kind:     global_buffer
      - .offset:         80
        .size:           4
        .value_kind:     by_value
      - .address_space:  global
        .offset:         88
        .size:           8
        .value_kind:     global_buffer
      - .address_space:  global
        .offset:         96
        .size:           8
        .value_kind:     global_buffer
    .group_segment_fixed_size: 4900
    .kernarg_segment_align: 8
    .kernarg_segment_size: 104
    .language:       OpenCL C
    .language_version:
      - 2
      - 0
    .max_flat_workgroup_size: 245
    .name:           bluestein_single_fwd_len175_dim1_half_op_CI_CI
    .private_segment_fixed_size: 0
    .sgpr_count:     22
    .sgpr_spill_count: 0
    .symbol:         bluestein_single_fwd_len175_dim1_half_op_CI_CI.kd
    .uniform_work_group_size: 1
    .uses_dynamic_stack: false
    .vgpr_count:     50
    .vgpr_spill_count: 0
    .wavefront_size: 32
    .workgroup_processor_mode: 1
amdhsa.target:   amdgcn-amd-amdhsa--gfx1030
amdhsa.version:
  - 1
  - 2
...

	.end_amdgpu_metadata
